;; amdgpu-corpus repo=ROCm/rocFFT kind=compiled arch=gfx950 opt=O3
	.text
	.amdgcn_target "amdgcn-amd-amdhsa--gfx950"
	.amdhsa_code_object_version 6
	.protected	fft_rtc_fwd_len128_factors_8_4_2_2_wgs_128_tpt_8_dim3_sp_ip_CI_sbcc_twdbase8_2step_dirReg_intrinsicReadWrite ; -- Begin function fft_rtc_fwd_len128_factors_8_4_2_2_wgs_128_tpt_8_dim3_sp_ip_CI_sbcc_twdbase8_2step_dirReg_intrinsicReadWrite
	.globl	fft_rtc_fwd_len128_factors_8_4_2_2_wgs_128_tpt_8_dim3_sp_ip_CI_sbcc_twdbase8_2step_dirReg_intrinsicReadWrite
	.p2align	8
	.type	fft_rtc_fwd_len128_factors_8_4_2_2_wgs_128_tpt_8_dim3_sp_ip_CI_sbcc_twdbase8_2step_dirReg_intrinsicReadWrite,@function
fft_rtc_fwd_len128_factors_8_4_2_2_wgs_128_tpt_8_dim3_sp_ip_CI_sbcc_twdbase8_2step_dirReg_intrinsicReadWrite: ; @fft_rtc_fwd_len128_factors_8_4_2_2_wgs_128_tpt_8_dim3_sp_ip_CI_sbcc_twdbase8_2step_dirReg_intrinsicReadWrite
; %bb.0:
	s_load_dwordx4 s[8:11], s[0:1], 0x10
	s_mov_b32 s3, 0
	s_mov_b64 s[16:17], 0
	s_waitcnt lgkmcnt(0)
	s_load_dwordx2 s[12:13], s[8:9], 0x8
	s_waitcnt lgkmcnt(0)
	s_add_u32 s4, s12, -1
	s_addc_u32 s5, s13, -1
	s_lshr_b64 s[4:5], s[4:5], 4
	s_add_u32 s14, s4, 1
	s_addc_u32 s15, s5, 0
	v_mov_b64_e32 v[2:3], s[14:15]
	v_cmp_lt_u64_e32 vcc, s[2:3], v[2:3]
	s_cbranch_vccnz .LBB0_2
; %bb.1:
	v_cvt_f32_u32_e32 v1, s14
	s_sub_i32 s4, 0, s14
	s_mov_b32 s17, s3
	v_rcp_iflag_f32_e32 v1, v1
	s_nop 0
	v_mul_f32_e32 v1, 0x4f7ffffe, v1
	v_cvt_u32_f32_e32 v1, v1
	s_nop 0
	v_readfirstlane_b32 s5, v1
	s_mul_i32 s4, s4, s5
	s_mul_hi_u32 s4, s5, s4
	s_add_i32 s5, s5, s4
	s_mul_hi_u32 s4, s2, s5
	s_mul_i32 s6, s4, s14
	s_sub_i32 s6, s2, s6
	s_add_i32 s5, s4, 1
	s_sub_i32 s7, s6, s14
	s_cmp_ge_u32 s6, s14
	s_cselect_b32 s4, s5, s4
	s_cselect_b32 s6, s7, s6
	s_add_i32 s5, s4, 1
	s_cmp_ge_u32 s6, s14
	s_cselect_b32 s16, s5, s4
.LBB0_2:
	s_load_dwordx2 s[20:21], s[8:9], 0x10
	s_load_dwordx4 s[4:7], s[10:11], 0x0
	s_mov_b64 s[18:19], s[16:17]
	s_waitcnt lgkmcnt(0)
	v_mov_b64_e32 v[2:3], s[20:21]
	v_cmp_lt_u64_e32 vcc, s[16:17], v[2:3]
	s_cbranch_vccnz .LBB0_4
; %bb.3:
	v_cvt_f32_u32_e32 v1, s20
	s_sub_i32 s8, 0, s20
	v_rcp_iflag_f32_e32 v1, v1
	s_nop 0
	v_mul_f32_e32 v1, 0x4f7ffffe, v1
	v_cvt_u32_f32_e32 v1, v1
	s_nop 0
	v_readfirstlane_b32 s9, v1
	s_mul_i32 s8, s8, s9
	s_mul_hi_u32 s8, s9, s8
	s_add_i32 s9, s9, s8
	s_mul_hi_u32 s8, s16, s9
	s_mul_i32 s8, s8, s20
	s_sub_i32 s8, s16, s8
	s_sub_i32 s9, s8, s20
	s_cmp_ge_u32 s8, s20
	s_cselect_b32 s8, s9, s8
	s_sub_i32 s9, s8, s20
	s_cmp_ge_u32 s8, s20
	s_cselect_b32 s18, s9, s8
.LBB0_4:
	s_mul_i32 s17, s20, s15
	s_mul_hi_u32 s19, s20, s14
	s_load_dwordx2 s[8:9], s[0:1], 0x50
	s_add_i32 s17, s19, s17
	s_mul_i32 s19, s21, s14
	s_mul_i32 s24, s20, s14
	s_load_dwordx2 s[20:21], s[10:11], 0x10
	s_add_i32 s25, s17, s19
	v_mov_b64_e32 v[2:3], s[24:25]
	v_cmp_lt_u64_e32 vcc, s[2:3], v[2:3]
	s_mov_b64 s[22:23], 0
	s_cbranch_vccnz .LBB0_6
; %bb.5:
	v_cvt_f32_u32_e32 v1, s24
	s_sub_i32 s3, 0, s24
	v_rcp_iflag_f32_e32 v1, v1
	s_nop 0
	v_mul_f32_e32 v1, 0x4f7ffffe, v1
	v_cvt_u32_f32_e32 v1, v1
	s_nop 0
	v_readfirstlane_b32 s17, v1
	s_mul_i32 s3, s3, s17
	s_mul_hi_u32 s3, s17, s3
	s_add_i32 s17, s17, s3
	s_mul_hi_u32 s3, s2, s17
	s_mul_i32 s19, s3, s24
	s_sub_i32 s19, s2, s19
	s_add_i32 s17, s3, 1
	s_sub_i32 s22, s19, s24
	s_cmp_ge_u32 s19, s24
	s_cselect_b32 s3, s17, s3
	s_cselect_b32 s19, s22, s19
	s_add_i32 s17, s3, 1
	s_cmp_ge_u32 s19, s24
	s_cselect_b32 s22, s17, s3
.LBB0_6:
	s_mul_i32 s3, s16, s15
	s_mul_hi_u32 s15, s16, s14
	s_add_i32 s15, s15, s3
	s_mul_i32 s3, s16, s14
	s_sub_u32 s2, s2, s3
	s_subb_u32 s3, 0, s15
	v_mov_b32_e32 v1, s2
	s_lshl_b64 s[14:15], s[2:3], 4
	v_alignbit_b32 v1, s3, v1, 28
	v_mul_lo_u32 v1, s6, v1
	s_mul_hi_u32 s2, s6, s14
	v_add_u32_e32 v1, s2, v1
	s_mul_i32 s2, s7, s14
	v_add_u32_e32 v3, s2, v1
	s_mul_i32 s2, s6, s14
	v_mov_b32_e32 v2, s2
	s_load_dwordx2 s[2:3], s[10:11], 0x18
	s_waitcnt lgkmcnt(0)
	s_mul_i32 s16, s21, s18
	s_mul_hi_u32 s10, s20, s18
	s_add_i32 s11, s10, s16
	s_mul_i32 s10, s20, s18
	v_lshl_add_u64 v[2:3], s[10:11], 0, v[2:3]
	s_mul_i32 s3, s3, s22
	s_mul_hi_u32 s10, s2, s22
	s_add_i32 s3, s10, s3
	s_mul_i32 s2, s2, s22
	v_lshl_add_u64 v[14:15], s[2:3], 0, v[2:3]
	s_add_u32 s2, s14, 16
	s_addc_u32 s3, s15, 0
	v_mov_b64_e32 v[2:3], s[12:13]
	v_lshrrev_b32_e32 v15, 4, v0
	v_cmp_le_u64_e32 vcc, s[2:3], v[2:3]
	v_mad_u64_u32 v[4:5], s[2:3], s4, v15, 0
	v_mov_b32_e32 v6, v5
	v_mad_u64_u32 v[6:7], s[2:3], s5, v15, v[6:7]
	v_and_b32_e32 v46, 15, v0
	v_mov_b32_e32 v5, v6
	v_or_b32_e32 v20, s14, v46
	v_mov_b32_e32 v21, s15
	v_mad_u64_u32 v[16:17], s[2:3], s6, v46, 0
	v_mad_u64_u32 v[4:5], s[2:3], s6, v46, v[4:5]
	v_mul_lo_u32 v1, s7, v46
	v_cmp_gt_u64_e64 s[2:3], s[12:13], v[20:21]
	v_add_u32_e32 v17, v17, v1
	v_mov_b32_e32 v2, 0
	s_or_b64 s[6:7], vcc, s[2:3]
	v_add_u32_e32 v12, v14, v4
	v_mov_b32_e32 v4, 0
	v_mov_b32_e32 v5, 0
	s_and_saveexec_b64 s[2:3], s[6:7]
	s_cbranch_execz .LBB0_8
; %bb.7:
	v_mov_b32_e32 v13, v2
	v_lshl_add_u64 v[4:5], v[12:13], 3, s[8:9]
	global_load_dwordx2 v[4:5], v[4:5], off
.LBB0_8:
	s_or_b64 exec, exec, s[2:3]
	v_add_u32_e32 v13, 16, v15
	v_mov_b32_e32 v3, 0
	s_and_saveexec_b64 s[2:3], s[6:7]
	s_cbranch_execz .LBB0_10
; %bb.9:
	v_mul_lo_u32 v1, s4, v13
	v_add3_u32 v2, v14, v16, v1
	v_mov_b32_e32 v3, 0
	v_lshl_add_u64 v[2:3], v[2:3], 3, s[8:9]
	global_load_dwordx2 v[2:3], v[2:3], off
.LBB0_10:
	s_or_b64 exec, exec, s[2:3]
	v_add_u32_e32 v62, 32, v15
	v_mov_b32_e32 v6, 0
	v_mov_b32_e32 v8, 0
	;; [unrolled: 1-line block ×3, first 2 shown]
	s_and_saveexec_b64 s[2:3], s[6:7]
	s_cbranch_execz .LBB0_12
; %bb.11:
	v_mul_lo_u32 v1, s4, v62
	v_add3_u32 v8, v14, v16, v1
	v_mov_b32_e32 v9, 0
	v_lshl_add_u64 v[8:9], v[8:9], 3, s[8:9]
	global_load_dwordx2 v[8:9], v[8:9], off
.LBB0_12:
	s_or_b64 exec, exec, s[2:3]
	v_add_u32_e32 v1, 48, v15
	v_mov_b32_e32 v7, 0
	s_and_saveexec_b64 s[2:3], s[6:7]
	s_cbranch_execz .LBB0_14
; %bb.13:
	v_mul_lo_u32 v6, s4, v1
	v_add3_u32 v6, v14, v16, v6
	v_mov_b32_e32 v7, 0
	v_lshl_add_u64 v[6:7], v[6:7], 3, s[8:9]
	global_load_dwordx2 v[6:7], v[6:7], off
.LBB0_14:
	s_or_b64 exec, exec, s[2:3]
	v_or_b32_e32 v21, 64, v15
	v_mad_u64_u32 v[18:19], s[2:3], s4, v21, v[16:17]
	v_mov_b32_e32 v10, 0
	v_add_u32_e32 v18, v14, v18
	v_mov_b32_e32 v22, 0
	v_mov_b32_e32 v23, 0
	s_and_saveexec_b64 s[2:3], s[6:7]
	s_cbranch_execz .LBB0_16
; %bb.15:
	v_mov_b32_e32 v19, v10
	v_lshl_add_u64 v[22:23], v[18:19], 3, s[8:9]
	global_load_dwordx2 v[22:23], v[22:23], off
.LBB0_16:
	s_or_b64 exec, exec, s[2:3]
	v_mov_b32_e32 v11, 0
	s_and_saveexec_b64 s[2:3], s[6:7]
	s_cbranch_execz .LBB0_18
; %bb.17:
	v_add_u32_e32 v10, 0x50, v15
	v_mul_lo_u32 v10, s4, v10
	v_add3_u32 v10, v14, v16, v10
	v_mov_b32_e32 v11, 0
	v_lshl_add_u64 v[10:11], v[10:11], 3, s[8:9]
	global_load_dwordx2 v[10:11], v[10:11], off
.LBB0_18:
	s_or_b64 exec, exec, s[2:3]
	v_mov_b32_e32 v28, 0
	v_mov_b32_e32 v30, 0
	;; [unrolled: 1-line block ×3, first 2 shown]
	s_and_saveexec_b64 s[2:3], s[6:7]
	s_cbranch_execz .LBB0_20
; %bb.19:
	v_add_u32_e32 v17, 0x60, v15
	v_mul_lo_u32 v17, s4, v17
	v_add3_u32 v24, v14, v16, v17
	v_mov_b32_e32 v25, 0
	v_lshl_add_u64 v[24:25], v[24:25], 3, s[8:9]
	global_load_dwordx2 v[30:31], v[24:25], off
.LBB0_20:
	s_or_b64 exec, exec, s[2:3]
	v_mov_b32_e32 v29, 0
	s_and_saveexec_b64 s[2:3], s[6:7]
	s_cbranch_execz .LBB0_22
; %bb.21:
	v_add_u32_e32 v17, 0x70, v15
	v_mul_lo_u32 v17, s4, v17
	v_add3_u32 v24, v14, v16, v17
	v_mov_b32_e32 v25, 0
	v_lshl_add_u64 v[24:25], v[24:25], 3, s[8:9]
	global_load_dwordx2 v[28:29], v[24:25], off
.LBB0_22:
	s_or_b64 exec, exec, s[2:3]
	v_add_u32_e32 v17, 8, v15
	v_mov_b32_e32 v24, 0
	v_mov_b32_e32 v26, 0
	;; [unrolled: 1-line block ×3, first 2 shown]
	s_and_saveexec_b64 s[2:3], s[6:7]
	s_cbranch_execz .LBB0_24
; %bb.23:
	v_mul_lo_u32 v19, s4, v17
	v_add3_u32 v26, v14, v16, v19
	v_mov_b32_e32 v27, 0
	v_lshl_add_u64 v[26:27], v[26:27], 3, s[8:9]
	global_load_dwordx2 v[26:27], v[26:27], off
.LBB0_24:
	s_or_b64 exec, exec, s[2:3]
	v_add_u32_e32 v19, 24, v15
	v_mov_b32_e32 v25, 0
	s_and_saveexec_b64 s[2:3], s[6:7]
	s_cbranch_execz .LBB0_26
; %bb.25:
	v_mul_lo_u32 v24, s4, v19
	v_add3_u32 v24, v14, v16, v24
	v_mov_b32_e32 v25, 0
	v_lshl_add_u64 v[24:25], v[24:25], 3, s[8:9]
	global_load_dwordx2 v[24:25], v[24:25], off
.LBB0_26:
	s_or_b64 exec, exec, s[2:3]
	v_add_u32_e32 v44, 40, v15
	v_mov_b32_e32 v32, 0
	v_mov_b32_e32 v34, 0
	v_mov_b32_e32 v35, 0
	s_and_saveexec_b64 s[2:3], s[6:7]
	s_cbranch_execz .LBB0_28
; %bb.27:
	v_mul_lo_u32 v33, s4, v44
	v_add3_u32 v34, v14, v16, v33
	v_mov_b32_e32 v35, 0
	v_lshl_add_u64 v[34:35], v[34:35], 3, s[8:9]
	global_load_dwordx2 v[34:35], v[34:35], off
.LBB0_28:
	s_or_b64 exec, exec, s[2:3]
	v_add_u32_e32 v45, 56, v15
	v_mov_b32_e32 v33, 0
	s_and_saveexec_b64 s[2:3], s[6:7]
	s_cbranch_execz .LBB0_30
; %bb.29:
	v_mul_lo_u32 v32, s4, v45
	v_add3_u32 v32, v14, v16, v32
	v_mov_b32_e32 v33, 0
	v_lshl_add_u64 v[32:33], v[32:33], 3, s[8:9]
	global_load_dwordx2 v[32:33], v[32:33], off
.LBB0_30:
	s_or_b64 exec, exec, s[2:3]
	v_mov_b32_e32 v36, 0
	v_mov_b32_e32 v38, 0
	;; [unrolled: 1-line block ×3, first 2 shown]
	s_and_saveexec_b64 s[2:3], s[6:7]
	s_cbranch_execz .LBB0_32
; %bb.31:
	v_add_u32_e32 v37, 0x48, v15
	v_mul_lo_u32 v37, s4, v37
	v_add3_u32 v38, v14, v16, v37
	v_mov_b32_e32 v39, 0
	v_lshl_add_u64 v[38:39], v[38:39], 3, s[8:9]
	global_load_dwordx2 v[38:39], v[38:39], off
.LBB0_32:
	s_or_b64 exec, exec, s[2:3]
	v_mov_b32_e32 v37, 0
	s_and_saveexec_b64 s[2:3], s[6:7]
	s_cbranch_execz .LBB0_34
; %bb.33:
	v_add_u32_e32 v36, 0x58, v15
	v_mul_lo_u32 v36, s4, v36
	v_add3_u32 v36, v14, v16, v36
	v_mov_b32_e32 v37, 0
	v_lshl_add_u64 v[36:37], v[36:37], 3, s[8:9]
	global_load_dwordx2 v[36:37], v[36:37], off
.LBB0_34:
	s_or_b64 exec, exec, s[2:3]
	s_load_dwordx2 s[2:3], s[0:1], 0x0
	v_mov_b32_e32 v40, 0
	v_mov_b32_e32 v42, 0
	;; [unrolled: 1-line block ×3, first 2 shown]
	s_and_saveexec_b64 s[10:11], s[6:7]
	s_cbranch_execz .LBB0_36
; %bb.35:
	v_add_u32_e32 v41, 0x68, v15
	v_mul_lo_u32 v41, s4, v41
	v_add3_u32 v42, v14, v16, v41
	v_mov_b32_e32 v43, 0
	v_lshl_add_u64 v[42:43], v[42:43], 3, s[8:9]
	global_load_dwordx2 v[42:43], v[42:43], off
.LBB0_36:
	s_or_b64 exec, exec, s[10:11]
	v_mov_b32_e32 v41, 0
	s_and_saveexec_b64 s[10:11], s[6:7]
	s_cbranch_execz .LBB0_38
; %bb.37:
	v_add_u32_e32 v40, 0x78, v15
	v_mul_lo_u32 v40, s4, v40
	v_add3_u32 v40, v14, v16, v40
	v_mov_b32_e32 v41, 0
	v_lshl_add_u64 v[40:41], v[40:41], 3, s[8:9]
	global_load_dwordx2 v[40:41], v[40:41], off
.LBB0_38:
	s_or_b64 exec, exec, s[10:11]
	s_waitcnt vmcnt(0)
	v_pk_add_f32 v[22:23], v[4:5], v[22:23] neg_lo:[0,1] neg_hi:[0,1]
	v_pk_add_f32 v[30:31], v[8:9], v[30:31] neg_lo:[0,1] neg_hi:[0,1]
	;; [unrolled: 1-line block ×4, first 2 shown]
	v_lshlrev_b32_e32 v10, 3, v46
	v_pk_fma_f32 v[8:9], v[8:9], 2.0, v[30:31] op_sel_hi:[1,0,1] neg_lo:[0,0,1] neg_hi:[0,0,1]
	v_pk_add_f32 v[46:47], v[22:23], v[30:31] op_sel:[0,1] op_sel_hi:[1,0] neg_lo:[0,1] neg_hi:[0,1]
	v_pk_add_f32 v[30:31], v[22:23], v[30:31] op_sel:[0,1] op_sel_hi:[1,0]
	v_pk_fma_f32 v[6:7], v[6:7], 2.0, v[28:29] op_sel_hi:[1,0,1] neg_lo:[0,0,1] neg_hi:[0,0,1]
	v_mov_b32_e32 v47, v31
	v_pk_add_f32 v[30:31], v[48:49], v[28:29] op_sel:[0,1] op_sel_hi:[1,0] neg_lo:[0,1] neg_hi:[0,1]
	v_pk_add_f32 v[28:29], v[48:49], v[28:29] op_sel:[0,1] op_sel_hi:[1,0]
	v_pk_fma_f32 v[4:5], v[4:5], 2.0, v[22:23] op_sel_hi:[1,0,1] neg_lo:[0,0,1] neg_hi:[0,0,1]
	v_mov_b32_e32 v31, v29
	v_pk_fma_f32 v[2:3], v[2:3], 2.0, v[48:49] op_sel_hi:[1,0,1] neg_lo:[0,0,1] neg_hi:[0,0,1]
	v_pk_fma_f32 v[22:23], v[22:23], 2.0, v[46:47] op_sel_hi:[1,0,1] neg_lo:[0,0,1] neg_hi:[0,0,1]
	;; [unrolled: 1-line block ×3, first 2 shown]
	s_mov_b32 s10, 0x3f3504f3
	v_pk_add_f32 v[8:9], v[4:5], v[8:9] neg_lo:[0,1] neg_hi:[0,1]
	v_pk_add_f32 v[6:7], v[2:3], v[6:7] neg_lo:[0,1] neg_hi:[0,1]
	v_pk_mul_f32 v[48:49], v[28:29], s[10:11] op_sel_hi:[1,0]
	v_pk_fma_f32 v[28:29], v[28:29], s[10:11], v[22:23] op_sel_hi:[1,0,1] neg_lo:[1,0,0] neg_hi:[1,0,0]
	v_pk_fma_f32 v[4:5], v[4:5], 2.0, v[8:9] op_sel_hi:[1,0,1] neg_lo:[0,0,1] neg_hi:[0,0,1]
	v_pk_fma_f32 v[2:3], v[2:3], 2.0, v[6:7] op_sel_hi:[1,0,1] neg_lo:[0,0,1] neg_hi:[0,0,1]
	v_pk_add_f32 v[50:51], v[28:29], v[48:49] op_sel:[0,1] op_sel_hi:[1,0] neg_lo:[0,1] neg_hi:[0,1]
	v_pk_add_f32 v[28:29], v[28:29], v[48:49] op_sel:[0,1] op_sel_hi:[1,0]
	v_lshlrev_b32_e32 v11, 10, v15
	v_pk_add_f32 v[2:3], v[4:5], v[2:3] neg_lo:[0,1] neg_hi:[0,1]
	v_mov_b32_e32 v51, v29
	v_add3_u32 v11, 0, v11, v10
	v_pk_fma_f32 v[4:5], v[4:5], 2.0, v[2:3] op_sel_hi:[1,0,1] neg_lo:[0,0,1] neg_hi:[0,0,1]
	v_pk_fma_f32 v[22:23], v[22:23], 2.0, v[50:51] op_sel_hi:[1,0,1] neg_lo:[0,0,1] neg_hi:[0,0,1]
	ds_write2_b64 v11, v[4:5], v[22:23] offset1:16
	v_pk_add_f32 v[4:5], v[8:9], v[6:7] op_sel:[0,1] op_sel_hi:[1,0] neg_lo:[0,1] neg_hi:[0,1]
	v_pk_add_f32 v[6:7], v[8:9], v[6:7] op_sel:[0,1] op_sel_hi:[1,0]
	v_pk_fma_f32 v[22:23], v[30:31], s[10:11], v[46:47] op_sel_hi:[1,0,1]
	v_mov_b32_e32 v5, v7
	v_pk_fma_f32 v[6:7], v[8:9], 2.0, v[4:5] op_sel_hi:[1,0,1] neg_lo:[0,0,1] neg_hi:[0,0,1]
	v_pk_mul_f32 v[8:9], v[30:31], s[10:11] op_sel_hi:[1,0]
	v_pk_add_f32 v[38:39], v[26:27], v[38:39] neg_lo:[0,1] neg_hi:[0,1]
	v_pk_add_f32 v[28:29], v[22:23], v[8:9] op_sel:[0,1] op_sel_hi:[1,0] neg_lo:[0,1] neg_hi:[0,1]
	v_pk_add_f32 v[8:9], v[22:23], v[8:9] op_sel:[0,1] op_sel_hi:[1,0]
	v_pk_add_f32 v[42:43], v[34:35], v[42:43] neg_lo:[0,1] neg_hi:[0,1]
	v_mov_b32_e32 v29, v9
	v_pk_fma_f32 v[8:9], v[46:47], 2.0, v[28:29] op_sel_hi:[1,0,1] neg_lo:[0,0,1] neg_hi:[0,0,1]
	v_pk_add_f32 v[36:37], v[24:25], v[36:37] neg_lo:[0,1] neg_hi:[0,1]
	v_pk_add_f32 v[40:41], v[32:33], v[40:41] neg_lo:[0,1] neg_hi:[0,1]
	ds_write2_b64 v11, v[6:7], v[8:9] offset0:32 offset1:48
	ds_write2_b64 v11, v[2:3], v[50:51] offset0:64 offset1:80
	;; [unrolled: 1-line block ×3, first 2 shown]
	v_lshlrev_b32_e32 v2, 10, v17
	v_add3_u32 v46, 0, v2, v10
	v_pk_fma_f32 v[2:3], v[26:27], 2.0, v[38:39] op_sel_hi:[1,0,1] neg_lo:[0,0,1] neg_hi:[0,0,1]
	v_pk_fma_f32 v[6:7], v[24:25], 2.0, v[36:37] op_sel_hi:[1,0,1] neg_lo:[0,0,1] neg_hi:[0,0,1]
	v_pk_add_f32 v[22:23], v[38:39], v[42:43] op_sel:[0,1] op_sel_hi:[1,0] neg_lo:[0,1] neg_hi:[0,1]
	v_pk_add_f32 v[24:25], v[38:39], v[42:43] op_sel:[0,1] op_sel_hi:[1,0]
	v_pk_add_f32 v[26:27], v[36:37], v[40:41] op_sel:[0,1] op_sel_hi:[1,0] neg_lo:[0,1] neg_hi:[0,1]
	v_pk_add_f32 v[28:29], v[36:37], v[40:41] op_sel:[0,1] op_sel_hi:[1,0]
	v_mov_b32_e32 v23, v25
	v_mov_b32_e32 v27, v29
	v_pk_fma_f32 v[4:5], v[34:35], 2.0, v[42:43] op_sel_hi:[1,0,1] neg_lo:[0,0,1] neg_hi:[0,0,1]
	v_pk_fma_f32 v[8:9], v[32:33], 2.0, v[40:41] op_sel_hi:[1,0,1] neg_lo:[0,0,1] neg_hi:[0,0,1]
	;; [unrolled: 1-line block ×4, first 2 shown]
	v_pk_add_f32 v[4:5], v[2:3], v[4:5] neg_lo:[0,1] neg_hi:[0,1]
	v_pk_add_f32 v[8:9], v[6:7], v[8:9] neg_lo:[0,1] neg_hi:[0,1]
	v_pk_mul_f32 v[30:31], v[28:29], s[10:11] op_sel_hi:[1,0]
	v_pk_fma_f32 v[28:29], v[28:29], s[10:11], v[24:25] op_sel_hi:[1,0,1] neg_lo:[1,0,0] neg_hi:[1,0,0]
	v_pk_fma_f32 v[2:3], v[2:3], 2.0, v[4:5] op_sel_hi:[1,0,1] neg_lo:[0,0,1] neg_hi:[0,0,1]
	v_pk_fma_f32 v[6:7], v[6:7], 2.0, v[8:9] op_sel_hi:[1,0,1] neg_lo:[0,0,1] neg_hi:[0,0,1]
	v_pk_add_f32 v[32:33], v[28:29], v[30:31] op_sel:[0,1] op_sel_hi:[1,0] neg_lo:[0,1] neg_hi:[0,1]
	v_pk_add_f32 v[28:29], v[28:29], v[30:31] op_sel:[0,1] op_sel_hi:[1,0]
	v_pk_add_f32 v[6:7], v[2:3], v[6:7] neg_lo:[0,1] neg_hi:[0,1]
	v_mov_b32_e32 v33, v29
	v_pk_fma_f32 v[2:3], v[2:3], 2.0, v[6:7] op_sel_hi:[1,0,1] neg_lo:[0,0,1] neg_hi:[0,0,1]
	v_pk_fma_f32 v[24:25], v[24:25], 2.0, v[32:33] op_sel_hi:[1,0,1] neg_lo:[0,0,1] neg_hi:[0,0,1]
	ds_write2_b64 v46, v[2:3], v[24:25] offset1:16
	v_pk_add_f32 v[2:3], v[4:5], v[8:9] op_sel:[0,1] op_sel_hi:[1,0] neg_lo:[0,1] neg_hi:[0,1]
	v_pk_add_f32 v[8:9], v[4:5], v[8:9] op_sel:[0,1] op_sel_hi:[1,0]
	v_pk_fma_f32 v[24:25], v[26:27], s[10:11], v[22:23] op_sel_hi:[1,0,1]
	v_mov_b32_e32 v3, v9
	v_pk_mul_f32 v[8:9], v[26:27], s[10:11] op_sel_hi:[1,0]
	v_pk_fma_f32 v[4:5], v[4:5], 2.0, v[2:3] op_sel_hi:[1,0,1] neg_lo:[0,0,1] neg_hi:[0,0,1]
	v_pk_add_f32 v[26:27], v[24:25], v[8:9] op_sel:[0,1] op_sel_hi:[1,0] neg_lo:[0,1] neg_hi:[0,1]
	v_pk_add_f32 v[8:9], v[24:25], v[8:9] op_sel:[0,1] op_sel_hi:[1,0]
	v_bfe_u32 v70, v0, 4, 3
	v_mov_b32_e32 v27, v9
	v_pk_fma_f32 v[8:9], v[22:23], 2.0, v[26:27] op_sel_hi:[1,0,1] neg_lo:[0,0,1] neg_hi:[0,0,1]
	ds_write2_b64 v46, v[4:5], v[8:9] offset0:32 offset1:48
	ds_write2_b64 v46, v[6:7], v[32:33] offset0:64 offset1:80
	;; [unrolled: 1-line block ×3, first 2 shown]
	v_mul_u32_u24_e32 v2, 3, v70
	v_lshlrev_b32_e32 v6, 3, v2
	s_waitcnt lgkmcnt(0)
	s_barrier
	global_load_dwordx4 v[2:5], v6, s[2:3]
	global_load_dwordx2 v[34:35], v6, s[2:3] offset:16
	s_movk_i32 s5, 0xfc80
	v_mad_i32_i24 v63, v15, s5, v11
	v_add_u32_e32 v11, 0x1400, v63
	ds_read2_b32 v[36:37], v11 offset1:1
	v_lshlrev_b32_e32 v6, 7, v62
	v_mad_i32_i24 v66, v17, s5, v46
	v_lshlrev_b32_e32 v11, 7, v13
	v_add3_u32 v67, 0, v6, v10
	ds_read2st64_b64 v[6:9], v63 offset0:16 offset1:18
	v_add3_u32 v64, 0, v11, v10
	ds_read_b64 v[38:39], v66
	ds_read_b64 v[40:41], v64
	ds_read2st64_b64 v[22:25], v63 offset0:12 offset1:14
	ds_read2st64_b64 v[26:29], v63 offset0:20 offset1:22
	;; [unrolled: 1-line block ×3, first 2 shown]
	s_waitcnt lgkmcnt(6)
	v_mov_b32_e32 v42, v37
	ds_read_b64 v[52:53], v67
	s_movk_i32 s5, 0xe0
	v_and_b32_e32 v76, 31, v45
	v_bfe_u32 v79, v0, 4, 5
	v_lshlrev_b32_e32 v0, 3, v79
	v_lshlrev_b32_e32 v73, 1, v13
	v_lshlrev_b32_e32 v72, 1, v19
	v_lshlrev_b32_e32 v74, 1, v17
	s_waitcnt vmcnt(1)
	v_pk_mul_f32 v[42:43], v[42:43], v[2:3] op_sel_hi:[0,1]
	v_pk_fma_f32 v[46:47], v[2:3], v[36:37], v[42:43] op_sel:[0,0,1] op_sel_hi:[1,1,0] neg_lo:[0,0,1] neg_hi:[0,0,1]
	v_pk_fma_f32 v[36:37], v[2:3], v[36:37], v[42:43] op_sel:[0,0,1] op_sel_hi:[1,0,0]
	s_nop 0
	v_mov_b32_e32 v47, v37
	s_waitcnt lgkmcnt(3)
	v_pk_mul_f32 v[36:37], v[24:25], v[2:3] op_sel:[0,1]
	s_nop 0
	v_pk_fma_f32 v[42:43], v[24:25], v[2:3], v[36:37] op_sel:[0,0,1] op_sel_hi:[1,1,0] neg_lo:[0,0,1] neg_hi:[0,0,1]
	v_pk_fma_f32 v[24:25], v[24:25], v[2:3], v[36:37] op_sel:[0,0,1] op_sel_hi:[1,0,0]
	s_nop 0
	v_mov_b32_e32 v43, v25
	v_pk_mul_f32 v[24:25], v[22:23], v[2:3] op_sel:[0,1]
	s_nop 0
	v_pk_fma_f32 v[36:37], v[22:23], v[2:3], v[24:25] op_sel:[0,0,1] op_sel_hi:[1,1,0] neg_lo:[0,0,1] neg_hi:[0,0,1]
	v_pk_fma_f32 v[22:23], v[22:23], v[2:3], v[24:25] op_sel:[0,0,1] op_sel_hi:[1,0,0]
	s_nop 0
	v_mov_b32_e32 v37, v23
	;; [unrolled: 6-line block ×3, first 2 shown]
	s_waitcnt lgkmcnt(2)
	v_pk_mul_f32 v[22:23], v[28:29], v[6:7] op_sel_hi:[1,0]
	v_pk_mul_f32 v[54:55], v[8:9], v[6:7] op_sel_hi:[1,0]
	v_pk_fma_f32 v[48:49], v[28:29], v[4:5], v[22:23] op_sel:[0,0,1] op_sel_hi:[1,1,0] neg_lo:[0,0,1] neg_hi:[0,0,1]
	v_pk_fma_f32 v[22:23], v[28:29], v[4:5], v[22:23] op_sel:[0,0,1] op_sel_hi:[1,0,0]
	v_pk_mul_f32 v[28:29], v[26:27], v[6:7] op_sel_hi:[1,0]
	v_pk_fma_f32 v[56:57], v[8:9], v[4:5], v[54:55] op_sel:[0,0,1] op_sel_hi:[1,1,0] neg_lo:[0,0,1] neg_hi:[0,0,1]
	v_pk_fma_f32 v[50:51], v[26:27], v[4:5], v[28:29] op_sel:[0,0,1] op_sel_hi:[1,1,0] neg_lo:[0,0,1] neg_hi:[0,0,1]
	v_pk_fma_f32 v[26:27], v[26:27], v[4:5], v[28:29] op_sel:[0,0,1] op_sel_hi:[1,0,0]
	v_pk_fma_f32 v[8:9], v[8:9], v[4:5], v[54:55] op_sel:[0,0,1] op_sel_hi:[1,0,0]
	s_waitcnt lgkmcnt(0)
	v_pk_mul_f32 v[4:5], v[2:3], v[52:53] op_sel:[0,1]
	s_waitcnt vmcnt(0)
	v_pk_mul_f32 v[28:29], v[32:33], v[34:35] op_sel:[0,1]
	v_pk_fma_f32 v[58:59], v[2:3], v[52:53], v[4:5] op_sel:[0,0,1] op_sel_hi:[1,1,0] neg_lo:[0,0,1] neg_hi:[0,0,1]
	v_pk_fma_f32 v[52:53], v[2:3], v[52:53], v[4:5] op_sel:[0,0,1] op_sel_hi:[1,0,0]
	ds_read2st64_b64 v[2:5], v63 offset0:24 offset1:26
	v_pk_fma_f32 v[60:61], v[32:33], v[34:35], v[28:29] op_sel:[0,0,1] op_sel_hi:[1,1,0] neg_lo:[0,0,1] neg_hi:[0,0,1]
	v_pk_fma_f32 v[28:29], v[32:33], v[34:35], v[28:29] op_sel:[0,0,1] op_sel_hi:[1,0,0]
	v_pk_mul_f32 v[32:33], v[30:31], v[34:35] op_sel:[0,1]
	v_mov_b32_e32 v25, v7
	s_waitcnt lgkmcnt(0)
	v_pk_mul_f32 v[6:7], v[34:35], v[2:3] op_sel:[0,1]
	v_pk_fma_f32 v[68:69], v[30:31], v[34:35], v[32:33] op_sel:[0,0,1] op_sel_hi:[1,1,0] neg_lo:[0,0,1] neg_hi:[0,0,1]
	v_pk_fma_f32 v[30:31], v[30:31], v[34:35], v[32:33] op_sel:[0,0,1] op_sel_hi:[1,0,0]
	v_pk_fma_f32 v[32:33], v[34:35], v[2:3], v[6:7] op_sel:[0,0,1] op_sel_hi:[1,1,0] neg_lo:[0,0,1] neg_hi:[0,0,1]
	v_pk_fma_f32 v[2:3], v[34:35], v[2:3], v[6:7] op_sel:[0,0,1] op_sel_hi:[1,0,0]
	v_lshlrev_b32_e32 v6, 2, v15
	v_and_or_b32 v6, v6, s5, v70
	v_lshlrev_b32_e32 v6, 7, v6
	v_add3_u32 v11, 0, v6, v10
	v_lshlrev_b32_e32 v6, 2, v17
	s_movk_i32 s5, 0x1e0
	v_and_or_b32 v6, v6, s5, v70
	v_lshlrev_b32_e32 v6, 7, v6
	v_lshlrev_b32_e32 v2, 7, v19
	v_add3_u32 v52, 0, v6, v10
	v_lshlrev_b32_e32 v6, 2, v13
	ds_read_b64 v[54:55], v63
	v_add3_u32 v65, 0, v2, v10
	v_and_or_b32 v6, v6, s5, v70
	v_mov_b32_e32 v33, v3
	ds_read_b64 v[2:3], v65
	v_lshlrev_b32_e32 v6, 7, v6
	v_add3_u32 v71, 0, v6, v10
	v_lshlrev_b32_e32 v6, 2, v19
	v_and_or_b32 v6, v6, s5, v70
	v_mov_b32_e32 v57, v9
	v_pk_mul_f32 v[8:9], v[4:5], v[34:35] op_sel:[0,1]
	v_mov_b32_e32 v69, v31
	v_lshlrev_b32_e32 v6, 7, v6
	v_mov_b32_e32 v59, v53
	v_pk_fma_f32 v[30:31], v[4:5], v[34:35], v[8:9] op_sel:[0,0,1] op_sel_hi:[1,1,0] neg_lo:[0,0,1] neg_hi:[0,0,1]
	v_pk_fma_f32 v[4:5], v[4:5], v[34:35], v[8:9] op_sel:[0,0,1] op_sel_hi:[1,0,0]
	v_mov_b32_e32 v49, v23
	v_add3_u32 v70, 0, v6, v10
	s_waitcnt lgkmcnt(1)
	v_pk_add_f32 v[6:7], v[54:55], v[24:25] neg_lo:[0,1] neg_hi:[0,1]
	v_mov_b32_e32 v31, v5
	v_pk_add_f32 v[4:5], v[58:59], v[32:33] neg_lo:[0,1] neg_hi:[0,1]
	v_pk_fma_f32 v[22:23], v[54:55], 2.0, v[6:7] op_sel_hi:[1,0,1] neg_lo:[0,0,1] neg_hi:[0,0,1]
	s_waitcnt lgkmcnt(0)
	v_pk_add_f32 v[24:25], v[2:3], v[48:49] neg_lo:[0,1] neg_hi:[0,1]
	v_pk_fma_f32 v[8:9], v[58:59], 2.0, v[4:5] op_sel_hi:[1,0,1] neg_lo:[0,0,1] neg_hi:[0,0,1]
	v_pk_add_f32 v[48:49], v[6:7], v[4:5] op_sel:[0,1] op_sel_hi:[1,0] neg_lo:[0,1] neg_hi:[0,1]
	v_pk_add_f32 v[4:5], v[6:7], v[4:5] op_sel:[0,1] op_sel_hi:[1,0]
	v_pk_add_f32 v[8:9], v[22:23], v[8:9] neg_lo:[0,1] neg_hi:[0,1]
	v_mov_b32_e32 v49, v5
	v_pk_fma_f32 v[22:23], v[22:23], 2.0, v[8:9] op_sel_hi:[1,0,1] neg_lo:[0,0,1] neg_hi:[0,0,1]
	v_pk_add_f32 v[32:33], v[38:39], v[56:57] neg_lo:[0,1] neg_hi:[0,1]
	v_pk_add_f32 v[30:31], v[46:47], v[30:31] neg_lo:[0,1] neg_hi:[0,1]
	v_pk_fma_f32 v[4:5], v[6:7], 2.0, v[48:49] op_sel_hi:[1,0,1] neg_lo:[0,0,1] neg_hi:[0,0,1]
	v_pk_fma_f32 v[34:35], v[38:39], 2.0, v[32:33] op_sel_hi:[1,0,1] neg_lo:[0,0,1] neg_hi:[0,0,1]
	;; [unrolled: 1-line block ×3, first 2 shown]
	s_barrier
	ds_write2st64_b64 v11, v[22:23], v[4:5] offset1:2
	ds_write2st64_b64 v11, v[8:9], v[48:49] offset0:4 offset1:6
	v_pk_add_f32 v[4:5], v[32:33], v[30:31] op_sel:[0,1] op_sel_hi:[1,0] neg_lo:[0,1] neg_hi:[0,1]
	v_pk_add_f32 v[6:7], v[32:33], v[30:31] op_sel:[0,1] op_sel_hi:[1,0]
	v_mov_b32_e32 v51, v27
	v_pk_add_f32 v[38:39], v[34:35], v[38:39] neg_lo:[0,1] neg_hi:[0,1]
	v_mov_b32_e32 v5, v7
	v_pk_add_f32 v[26:27], v[40:41], v[50:51] neg_lo:[0,1] neg_hi:[0,1]
	v_pk_fma_f32 v[34:35], v[34:35], 2.0, v[38:39] op_sel_hi:[1,0,1] neg_lo:[0,0,1] neg_hi:[0,0,1]
	v_pk_add_f32 v[46:47], v[36:37], v[68:69] neg_lo:[0,1] neg_hi:[0,1]
	v_pk_fma_f32 v[6:7], v[32:33], 2.0, v[4:5] op_sel_hi:[1,0,1] neg_lo:[0,0,1] neg_hi:[0,0,1]
	v_mov_b32_e32 v61, v29
	v_pk_fma_f32 v[28:29], v[40:41], 2.0, v[26:27] op_sel_hi:[1,0,1] neg_lo:[0,0,1] neg_hi:[0,0,1]
	v_pk_fma_f32 v[36:37], v[36:37], 2.0, v[46:47] op_sel_hi:[1,0,1] neg_lo:[0,0,1] neg_hi:[0,0,1]
	ds_write2st64_b64 v52, v[34:35], v[6:7] offset1:2
	ds_write2st64_b64 v52, v[38:39], v[4:5] offset0:4 offset1:6
	v_pk_add_f32 v[4:5], v[26:27], v[46:47] op_sel:[0,1] op_sel_hi:[1,0] neg_lo:[0,1] neg_hi:[0,1]
	v_pk_add_f32 v[6:7], v[26:27], v[46:47] op_sel:[0,1] op_sel_hi:[1,0]
	v_pk_add_f32 v[36:37], v[28:29], v[36:37] neg_lo:[0,1] neg_hi:[0,1]
	v_mov_b32_e32 v5, v7
	v_pk_add_f32 v[40:41], v[42:43], v[60:61] neg_lo:[0,1] neg_hi:[0,1]
	v_pk_fma_f32 v[28:29], v[28:29], 2.0, v[36:37] op_sel_hi:[1,0,1] neg_lo:[0,0,1] neg_hi:[0,0,1]
	v_pk_fma_f32 v[6:7], v[26:27], 2.0, v[4:5] op_sel_hi:[1,0,1] neg_lo:[0,0,1] neg_hi:[0,0,1]
	;; [unrolled: 1-line block ×4, first 2 shown]
	ds_write2st64_b64 v71, v[28:29], v[6:7] offset1:2
	ds_write2st64_b64 v71, v[36:37], v[4:5] offset0:4 offset1:6
	v_pk_add_f32 v[4:5], v[24:25], v[40:41] op_sel:[0,1] op_sel_hi:[1,0] neg_lo:[0,1] neg_hi:[0,1]
	v_pk_add_f32 v[6:7], v[24:25], v[40:41] op_sel:[0,1] op_sel_hi:[1,0]
	v_pk_add_f32 v[42:43], v[2:3], v[42:43] neg_lo:[0,1] neg_hi:[0,1]
	v_mov_b32_e32 v5, v7
	v_pk_fma_f32 v[2:3], v[2:3], 2.0, v[42:43] op_sel_hi:[1,0,1] neg_lo:[0,0,1] neg_hi:[0,0,1]
	v_pk_fma_f32 v[6:7], v[24:25], 2.0, v[4:5] op_sel_hi:[1,0,1] neg_lo:[0,0,1] neg_hi:[0,0,1]
	v_and_b32_e32 v11, 31, v1
	ds_write2st64_b64 v70, v[2:3], v[6:7] offset1:2
	ds_write2st64_b64 v70, v[42:43], v[4:5] offset0:4 offset1:6
	v_lshlrev_b32_e32 v2, 3, v11
	v_and_b32_e32 v68, 31, v44
	s_waitcnt lgkmcnt(0)
	s_barrier
	v_lshlrev_b32_e32 v3, 3, v68
	v_lshlrev_b32_e32 v4, 3, v76
	global_load_dwordx2 v[30:31], v2, s[2:3] offset:192
	global_load_dwordx2 v[32:33], v4, s[2:3] offset:192
	;; [unrolled: 1-line block ×3, first 2 shown]
	v_and_b32_e32 v69, 31, v13
	v_lshlrev_b32_e32 v2, 3, v69
	v_and_b32_e32 v71, 31, v19
	v_and_b32_e32 v70, 31, v17
	global_load_dwordx2 v[36:37], v2, s[2:3] offset:192
	v_lshlrev_b32_e32 v2, 3, v71
	v_lshlrev_b32_e32 v3, 3, v70
	global_load_dwordx2 v[38:39], v2, s[2:3] offset:192
	global_load_dwordx2 v[40:41], v3, s[2:3] offset:192
	;; [unrolled: 1-line block ×3, first 2 shown]
	ds_read2st64_b64 v[2:5], v63 offset1:16
	ds_read2st64_b64 v[6:9], v63 offset0:18 offset1:20
	ds_read2st64_b64 v[22:25], v63 offset0:26 offset1:28
	;; [unrolled: 1-line block ×3, first 2 shown]
	v_lshlrev_b32_e32 v0, 7, v44
	v_add3_u32 v75, 0, v0, v10
	s_movk_i32 s5, 0xc0
	s_waitcnt vmcnt(6)
	v_mov_b32_e32 v0, v31
	s_waitcnt lgkmcnt(1)
	v_pk_mul_f32 v[46:47], v[24:25], v[0:1] op_sel_hi:[1,0]
	s_waitcnt vmcnt(4)
	v_mov_b32_e32 v0, v35
	v_pk_fma_f32 v[48:49], v[24:25], v[30:31], v[46:47] op_sel:[0,0,1] op_sel_hi:[1,1,0] neg_lo:[0,0,1] neg_hi:[0,0,1]
	v_pk_fma_f32 v[24:25], v[24:25], v[30:31], v[46:47] op_sel:[0,0,1] op_sel_hi:[1,0,0]
	v_pk_mul_f32 v[30:31], v[22:23], v[0:1] op_sel_hi:[1,0]
	v_lshlrev_b32_e32 v0, 7, v1
	v_pk_fma_f32 v[46:47], v[22:23], v[34:35], v[30:31] op_sel:[0,0,1] op_sel_hi:[1,1,0] neg_lo:[0,0,1] neg_hi:[0,0,1]
	v_pk_fma_f32 v[22:23], v[22:23], v[34:35], v[30:31] op_sel:[0,0,1] op_sel_hi:[1,0,0]
	s_waitcnt vmcnt(3)
	v_pk_mul_f32 v[30:31], v[36:37], v[8:9] op_sel:[0,1]
	v_add3_u32 v77, 0, v0, v10
	v_pk_fma_f32 v[34:35], v[36:37], v[8:9], v[30:31] op_sel:[0,0,1] op_sel_hi:[1,1,0] neg_lo:[0,0,1] neg_hi:[0,0,1]
	v_pk_fma_f32 v[8:9], v[36:37], v[8:9], v[30:31] op_sel:[0,0,1] op_sel_hi:[1,0,0]
	s_waitcnt vmcnt(1)
	v_pk_mul_f32 v[30:31], v[40:41], v[6:7] op_sel:[0,1]
	v_lshlrev_b32_e32 v0, 7, v45
	v_pk_fma_f32 v[36:37], v[40:41], v[6:7], v[30:31] op_sel:[0,0,1] op_sel_hi:[1,1,0] neg_lo:[0,0,1] neg_hi:[0,0,1]
	v_pk_fma_f32 v[6:7], v[40:41], v[6:7], v[30:31] op_sel:[0,0,1] op_sel_hi:[1,0,0]
	s_waitcnt lgkmcnt(0)
	v_pk_mul_f32 v[30:31], v[38:39], v[26:27] op_sel:[0,1]
	v_add3_u32 v78, 0, v0, v10
	v_pk_fma_f32 v[40:41], v[38:39], v[26:27], v[30:31] op_sel:[0,0,1] op_sel_hi:[1,1,0] neg_lo:[0,0,1] neg_hi:[0,0,1]
	v_pk_fma_f32 v[26:27], v[38:39], v[26:27], v[30:31] op_sel:[0,0,1] op_sel_hi:[1,0,0]
	s_waitcnt vmcnt(0)
	v_pk_mul_f32 v[30:31], v[28:29], v[42:43] op_sel:[0,1]
	v_lshlrev_b32_e32 v0, 1, v15
	v_pk_fma_f32 v[38:39], v[28:29], v[42:43], v[30:31] op_sel:[0,0,1] op_sel_hi:[1,1,0] neg_lo:[0,0,1] neg_hi:[0,0,1]
	v_pk_fma_f32 v[28:29], v[28:29], v[42:43], v[30:31] op_sel:[0,0,1] op_sel_hi:[1,0,0]
	v_pk_mul_f32 v[30:31], v[42:43], v[4:5] op_sel:[0,1]
	v_and_or_b32 v0, v0, 64, v79
	v_pk_fma_f32 v[50:51], v[42:43], v[4:5], v[30:31] op_sel:[0,0,1] op_sel_hi:[1,1,0] neg_lo:[0,0,1] neg_hi:[0,0,1]
	v_pk_fma_f32 v[4:5], v[42:43], v[4:5], v[30:31] op_sel:[0,0,1] op_sel_hi:[1,0,0]
	v_lshlrev_b32_e32 v0, 7, v0
	v_mov_b32_e32 v51, v5
	v_pk_add_f32 v[4:5], v[2:3], v[50:51] neg_lo:[0,1] neg_hi:[0,1]
	ds_read_b64 v[30:31], v65
	ds_read_b64 v[42:43], v75
	;; [unrolled: 1-line block ×7, first 2 shown]
	ds_read_b64 v[60:61], v63 offset:15360
	v_add3_u32 v0, 0, v0, v10
	v_pk_fma_f32 v[2:3], v[2:3], 2.0, v[4:5] op_sel_hi:[1,0,1] neg_lo:[0,0,1] neg_hi:[0,0,1]
	s_waitcnt lgkmcnt(0)
	s_barrier
	ds_write2st64_b64 v0, v[2:3], v[4:5] offset1:8
	v_mov_b32_e32 v0, v33
	v_pk_mul_f32 v[2:3], v[60:61], v[0:1] op_sel_hi:[1,0]
	v_and_or_b32 v0, v74, s5, v70
	v_pk_fma_f32 v[4:5], v[60:61], v[32:33], v[2:3] op_sel:[0,0,1] op_sel_hi:[1,1,0] neg_lo:[0,0,1] neg_hi:[0,0,1]
	v_pk_fma_f32 v[2:3], v[60:61], v[32:33], v[2:3] op_sel:[0,0,1] op_sel_hi:[1,0,0]
	v_lshlrev_b32_e32 v70, 1, v44
	v_and_or_b32 v2, v73, s5, v69
	v_lshlrev_b32_e32 v2, 7, v2
	v_add3_u32 v60, 0, v2, v10
	v_and_or_b32 v2, v72, s5, v71
	v_lshlrev_b32_e32 v2, 7, v2
	v_lshlrev_b32_e32 v71, 1, v62
	v_add3_u32 v61, 0, v2, v10
	v_and_or_b32 v2, v71, s5, v79
	v_lshlrev_b32_e32 v2, 7, v2
	v_add3_u32 v79, 0, v2, v10
	v_and_or_b32 v2, v70, s5, v68
	v_lshlrev_b32_e32 v2, 7, v2
	v_lshlrev_b32_e32 v69, 1, v1
	v_add3_u32 v80, 0, v2, v10
	v_and_or_b32 v2, v69, s5, v11
	v_mov_b32_e32 v41, v27
	v_lshlrev_b32_e32 v2, 7, v2
	v_lshlrev_b32_e32 v68, 1, v45
	v_mov_b32_e32 v49, v25
	v_mov_b32_e32 v35, v9
	;; [unrolled: 1-line block ×3, first 2 shown]
	v_add3_u32 v81, 0, v2, v10
	v_and_or_b32 v2, v68, s5, v76
	v_pk_add_f32 v[24:25], v[30:31], v[40:41] neg_lo:[0,1] neg_hi:[0,1]
	v_mov_b32_e32 v5, v3
	v_mov_b32_e32 v47, v23
	v_lshlrev_b32_e32 v0, 7, v0
	v_lshlrev_b32_e32 v2, 7, v2
	v_pk_fma_f32 v[26:27], v[30:31], 2.0, v[24:25] op_sel_hi:[1,0,1] neg_lo:[0,0,1] neg_hi:[0,0,1]
	v_pk_add_f32 v[30:31], v[54:55], v[34:35] neg_lo:[0,1] neg_hi:[0,1]
	v_pk_add_f32 v[34:35], v[56:57], v[36:37] neg_lo:[0,1] neg_hi:[0,1]
	v_mov_b32_e32 v39, v29
	v_add3_u32 v0, 0, v0, v10
	v_add3_u32 v76, 0, v2, v10
	v_pk_add_f32 v[2:3], v[52:53], v[4:5] neg_lo:[0,1] neg_hi:[0,1]
	v_pk_add_f32 v[6:7], v[50:51], v[48:49] neg_lo:[0,1] neg_hi:[0,1]
	;; [unrolled: 1-line block ×3, first 2 shown]
	v_pk_fma_f32 v[36:37], v[56:57], 2.0, v[34:35] op_sel_hi:[1,0,1] neg_lo:[0,0,1] neg_hi:[0,0,1]
	v_pk_add_f32 v[28:29], v[58:59], v[38:39] neg_lo:[0,1] neg_hi:[0,1]
	v_pk_fma_f32 v[4:5], v[52:53], 2.0, v[2:3] op_sel_hi:[1,0,1] neg_lo:[0,0,1] neg_hi:[0,0,1]
	v_pk_fma_f32 v[8:9], v[50:51], 2.0, v[6:7] op_sel_hi:[1,0,1] neg_lo:[0,0,1] neg_hi:[0,0,1]
	;; [unrolled: 1-line block ×5, first 2 shown]
	ds_write2st64_b64 v0, v[36:37], v[34:35] offset1:8
	ds_write2st64_b64 v60, v[32:33], v[30:31] offset1:8
	ds_write2st64_b64 v61, v[26:27], v[24:25] offset1:8
	ds_write2st64_b64 v79, v[38:39], v[28:29] offset1:8
	ds_write2st64_b64 v80, v[22:23], v[10:11] offset1:8
	ds_write2st64_b64 v81, v[8:9], v[6:7] offset1:8
	ds_write2st64_b64 v76, v[4:5], v[2:3] offset1:8
	s_waitcnt lgkmcnt(0)
	s_barrier
	s_and_saveexec_b64 s[10:11], s[6:7]
	s_cbranch_execz .LBB0_40
; %bb.39:
	v_and_b32_e32 v76, 63, v1
	v_lshlrev_b32_e32 v0, 3, v76
	v_and_b32_e32 v79, 63, v44
	global_load_dwordx2 v[22:23], v0, s[2:3] offset:448
	v_lshlrev_b32_e32 v0, 3, v79
	v_and_b32_e32 v80, 63, v62
	global_load_dwordx2 v[24:25], v0, s[2:3] offset:448
	;; [unrolled: 3-line block ×3, first 2 shown]
	v_lshlrev_b32_e32 v0, 3, v81
	v_and_b32_e32 v83, 63, v13
	s_load_dwordx2 s[0:1], s[0:1], 0x8
	global_load_dwordx2 v[28:29], v0, s[2:3] offset:448
	v_lshlrev_b32_e32 v0, 3, v83
	v_and_b32_e32 v84, 63, v17
	global_load_dwordx2 v[30:31], v0, s[2:3] offset:448
	v_lshlrev_b32_e32 v0, 3, v84
	v_and_b32_e32 v82, 63, v45
	global_load_dwordx2 v[32:33], v0, s[2:3] offset:448
	v_lshlrev_b32_e32 v0, 3, v82
	v_mov_b32_e32 v85, 3
	v_mul_lo_u32 v2, v20, v82
	global_load_dwordx2 v[34:35], v0, s[2:3] offset:448
	v_or_b32_e32 v0, 64, v45
	v_lshlrev_b32_sdwa v3, v85, v2 dst_sel:DWORD dst_unused:UNUSED_PAD src0_sel:DWORD src1_sel:BYTE_0
	v_lshlrev_b32_sdwa v2, v85, v2 dst_sel:DWORD dst_unused:UNUSED_PAD src0_sel:DWORD src1_sel:BYTE_1
	s_waitcnt lgkmcnt(0)
	global_load_dwordx2 v[40:41], v2, s[0:1] offset:2048
	v_mul_lo_u32 v0, v20, v0
	v_lshlrev_b32_sdwa v2, v85, v0 dst_sel:DWORD dst_unused:UNUSED_PAD src0_sel:DWORD src1_sel:BYTE_0
	v_lshlrev_b32_sdwa v0, v85, v0 dst_sel:DWORD dst_unused:UNUSED_PAD src0_sel:DWORD src1_sel:BYTE_1
	global_load_dwordx2 v[46:47], v3, s[0:1]
	global_load_dwordx2 v[36:37], v0, s[0:1] offset:2048
	global_load_dwordx2 v[38:39], v2, s[0:1]
	v_or_b32_e32 v0, 64, v1
	v_mul_lo_u32 v2, v20, v76
	v_mul_lo_u32 v0, v20, v0
	v_lshlrev_b32_sdwa v3, v85, v2 dst_sel:DWORD dst_unused:UNUSED_PAD src0_sel:DWORD src1_sel:BYTE_0
	v_lshlrev_b32_sdwa v1, v85, v0 dst_sel:DWORD dst_unused:UNUSED_PAD src0_sel:DWORD src1_sel:BYTE_0
	v_lshlrev_b32_sdwa v0, v85, v0 dst_sel:DWORD dst_unused:UNUSED_PAD src0_sel:DWORD src1_sel:BYTE_1
	v_lshlrev_b32_sdwa v2, v85, v2 dst_sel:DWORD dst_unused:UNUSED_PAD src0_sel:DWORD src1_sel:BYTE_1
	global_load_dwordx2 v[48:49], v3, s[0:1]
	global_load_dwordx2 v[50:51], v2, s[0:1] offset:2048
	global_load_dwordx2 v[52:53], v0, s[0:1] offset:2048
	global_load_dwordx2 v[54:55], v1, s[0:1]
	v_or_b32_e32 v0, 64, v44
	v_mul_lo_u32 v2, v20, v79
	v_mul_lo_u32 v0, v20, v0
	v_lshlrev_b32_sdwa v3, v85, v2 dst_sel:DWORD dst_unused:UNUSED_PAD src0_sel:DWORD src1_sel:BYTE_0
	v_lshlrev_b32_sdwa v1, v85, v0 dst_sel:DWORD dst_unused:UNUSED_PAD src0_sel:DWORD src1_sel:BYTE_0
	v_lshlrev_b32_sdwa v0, v85, v0 dst_sel:DWORD dst_unused:UNUSED_PAD src0_sel:DWORD src1_sel:BYTE_1
	v_lshlrev_b32_sdwa v2, v85, v2 dst_sel:DWORD dst_unused:UNUSED_PAD src0_sel:DWORD src1_sel:BYTE_1
	global_load_dwordx2 v[42:43], v3, s[0:1]
	global_load_dwordx2 v[44:45], v2, s[0:1] offset:2048
	global_load_dwordx2 v[56:57], v0, s[0:1] offset:2048
	global_load_dwordx2 v[58:59], v1, s[0:1]
	ds_read2st64_b64 v[8:11], v63 offset0:26 offset1:28
	ds_read2st64_b64 v[4:7], v63 offset0:22 offset1:24
	ds_read2st64_b64 v[0:3], v63 offset0:18 offset1:20
	ds_read_b64 v[60:61], v63 offset:15360
	ds_read_b64 v[86:87], v67
	ds_read_b64 v[66:67], v66
	s_waitcnt vmcnt(18) lgkmcnt(5)
	v_pk_mul_f32 v[88:89], v[10:11], v[22:23] op_sel:[0,1]
	s_nop 0
	v_pk_fma_f32 v[102:103], v[10:11], v[22:23], v[88:89] op_sel:[0,0,1] op_sel_hi:[1,1,0] neg_lo:[0,0,1] neg_hi:[0,0,1]
	v_pk_fma_f32 v[10:11], v[10:11], v[22:23], v[88:89] op_sel:[0,0,1] op_sel_hi:[1,0,0]
	s_waitcnt vmcnt(17)
	v_pk_mul_f32 v[90:91], v[8:9], v[24:25] op_sel:[0,1]
	v_mov_b32_e32 v103, v11
	v_pk_fma_f32 v[22:23], v[8:9], v[24:25], v[90:91] op_sel:[0,0,1] op_sel_hi:[1,1,0] neg_lo:[0,0,1] neg_hi:[0,0,1]
	s_waitcnt vmcnt(16) lgkmcnt(4)
	v_pk_mul_f32 v[92:93], v[6:7], v[26:27] op_sel:[0,1]
	v_pk_fma_f32 v[8:9], v[8:9], v[24:25], v[90:91] op_sel:[0,0,1] op_sel_hi:[1,0,0]
	v_pk_fma_f32 v[24:25], v[6:7], v[26:27], v[92:93] op_sel:[0,0,1] op_sel_hi:[1,1,0] neg_lo:[0,0,1] neg_hi:[0,0,1]
	v_pk_fma_f32 v[6:7], v[6:7], v[26:27], v[92:93] op_sel:[0,0,1] op_sel_hi:[1,0,0]
	s_waitcnt vmcnt(15)
	v_pk_mul_f32 v[94:95], v[28:29], v[4:5] op_sel:[0,1]
	v_mov_b32_e32 v23, v9
	v_pk_fma_f32 v[26:27], v[28:29], v[4:5], v[94:95] op_sel:[0,0,1] op_sel_hi:[1,1,0] neg_lo:[0,0,1] neg_hi:[0,0,1]
	s_waitcnt vmcnt(14) lgkmcnt(3)
	v_pk_mul_f32 v[96:97], v[30:31], v[2:3] op_sel:[0,1]
	v_pk_fma_f32 v[4:5], v[28:29], v[4:5], v[94:95] op_sel:[0,0,1] op_sel_hi:[1,0,0]
	v_pk_fma_f32 v[28:29], v[30:31], v[2:3], v[96:97] op_sel:[0,0,1] op_sel_hi:[1,1,0] neg_lo:[0,0,1] neg_hi:[0,0,1]
	s_waitcnt vmcnt(13)
	v_pk_mul_f32 v[98:99], v[32:33], v[0:1] op_sel:[0,1]
	v_pk_fma_f32 v[30:31], v[30:31], v[2:3], v[96:97] op_sel:[0,0,1] op_sel_hi:[1,0,0]
	v_pk_fma_f32 v[88:89], v[32:33], v[0:1], v[98:99] op_sel:[0,0,1] op_sel_hi:[1,1,0] neg_lo:[0,0,1] neg_hi:[0,0,1]
	v_pk_fma_f32 v[32:33], v[32:33], v[0:1], v[98:99] op_sel:[0,0,1] op_sel_hi:[1,0,0]
	s_waitcnt vmcnt(12) lgkmcnt(2)
	v_pk_mul_f32 v[100:101], v[60:61], v[34:35] op_sel:[0,1]
	v_mov_b32_e32 v25, v7
	v_pk_fma_f32 v[90:91], v[60:61], v[34:35], v[100:101] op_sel:[0,0,1] op_sel_hi:[1,1,0] neg_lo:[0,0,1] neg_hi:[0,0,1]
	v_pk_fma_f32 v[34:35], v[60:61], v[34:35], v[100:101] op_sel:[0,0,1] op_sel_hi:[1,0,0]
	v_mov_b32_e32 v27, v5
	v_mov_b32_e32 v91, v35
	s_waitcnt vmcnt(10)
	v_mul_f32_e32 v0, v47, v41
	v_fma_f32 v120, v46, v40, -v0
	s_waitcnt vmcnt(9)
	v_mov_b32_e32 v0, v37
	v_mul_f32_e32 v32, v46, v41
	s_waitcnt vmcnt(8)
	v_pk_mul_f32 v[0:1], v[38:39], v[0:1] op_sel:[1,0] op_sel_hi:[0,1]
	v_fmac_f32_e32 v32, v47, v40
	v_pk_mul_f32 v[2:3], v[38:39], v[36:37] op_sel:[1,0] op_sel_hi:[0,1]
	v_pk_fma_f32 v[40:41], v[38:39], v[36:37], v[0:1] neg_lo:[0,0,1] neg_hi:[0,0,1]
	v_mov_b32_e32 v2, v3
	s_waitcnt vmcnt(5)
	v_mov_b32_e32 v0, v53
	s_waitcnt vmcnt(4)
	v_pk_mul_f32 v[0:1], v[54:55], v[0:1] op_sel:[1,0] op_sel_hi:[0,1]
	v_pk_fma_f32 v[36:37], v[38:39], v[36:37], v[2:3] op_sel:[1,0,0] op_sel_hi:[0,1,1]
	v_pk_fma_f32 v[38:39], v[54:55], v[52:53], v[0:1] neg_lo:[0,0,1] neg_hi:[0,0,1]
	v_mul_f32_e32 v0, v49, v51
	v_fma_f32 v121, v48, v50, -v0
	v_mul_f32_e32 v122, v48, v51
	v_fmac_f32_e32 v122, v49, v50
	s_waitcnt vmcnt(1)
	v_mov_b32_e32 v0, v57
	s_waitcnt vmcnt(0)
	v_pk_mul_f32 v[0:1], v[58:59], v[0:1] op_sel:[1,0] op_sel_hi:[0,1]
	v_pk_fma_f32 v[48:49], v[58:59], v[56:57], v[0:1] neg_lo:[0,0,1] neg_hi:[0,0,1]
	v_pk_mul_f32 v[0:1], v[58:59], v[56:57] op_sel:[1,0] op_sel_hi:[0,1]
	v_mov_b32_e32 v0, v1
	v_pk_fma_f32 v[50:51], v[58:59], v[56:57], v[0:1] op_sel:[1,0,0] op_sel_hi:[0,1,1]
	v_or_b32_e32 v0, 64, v62
	v_mul_lo_u32 v0, v20, v0
	v_pk_mul_f32 v[2:3], v[54:55], v[52:53] op_sel:[1,0] op_sel_hi:[0,1]
	v_lshlrev_b32_sdwa v4, v85, v0 dst_sel:DWORD dst_unused:UNUSED_PAD src0_sel:DWORD src1_sel:BYTE_0
	v_lshlrev_b32_sdwa v6, v85, v0 dst_sel:DWORD dst_unused:UNUSED_PAD src0_sel:DWORD src1_sel:BYTE_1
	v_mul_lo_u32 v0, v20, v80
	v_mov_b32_e32 v2, v3
	v_lshlrev_b32_sdwa v8, v85, v0 dst_sel:DWORD dst_unused:UNUSED_PAD src0_sel:DWORD src1_sel:BYTE_0
	v_pk_fma_f32 v[46:47], v[54:55], v[52:53], v[2:3] op_sel:[1,0,0] op_sel_hi:[0,1,1]
	v_lshlrev_b32_sdwa v10, v85, v0 dst_sel:DWORD dst_unused:UNUSED_PAD src0_sel:DWORD src1_sel:BYTE_1
	global_load_dwordx2 v[0:1], v8, s[0:1]
	global_load_dwordx2 v[2:3], v10, s[0:1] offset:2048
	global_load_dwordx2 v[52:53], v6, s[0:1] offset:2048
	global_load_dwordx2 v[54:55], v4, s[0:1]
	v_or_b32_e32 v4, 64, v19
	v_mul_lo_u32 v8, v20, v81
	v_mul_lo_u32 v4, v20, v4
	v_lshlrev_b32_sdwa v10, v85, v8 dst_sel:DWORD dst_unused:UNUSED_PAD src0_sel:DWORD src1_sel:BYTE_0
	v_lshlrev_b32_sdwa v6, v85, v4 dst_sel:DWORD dst_unused:UNUSED_PAD src0_sel:DWORD src1_sel:BYTE_0
	v_lshlrev_b32_sdwa v4, v85, v4 dst_sel:DWORD dst_unused:UNUSED_PAD src0_sel:DWORD src1_sel:BYTE_1
	v_lshlrev_b32_sdwa v8, v85, v8 dst_sel:DWORD dst_unused:UNUSED_PAD src0_sel:DWORD src1_sel:BYTE_1
	global_load_dwordx2 v[56:57], v10, s[0:1]
	global_load_dwordx2 v[58:59], v8, s[0:1] offset:2048
	global_load_dwordx2 v[60:61], v4, s[0:1] offset:2048
	global_load_dwordx2 v[92:93], v6, s[0:1]
	v_or_b32_e32 v4, 64, v13
	v_mul_lo_u32 v8, v20, v83
	v_mul_lo_u32 v4, v20, v4
	v_lshlrev_b32_sdwa v10, v85, v8 dst_sel:DWORD dst_unused:UNUSED_PAD src0_sel:DWORD src1_sel:BYTE_0
	v_lshlrev_b32_sdwa v6, v85, v4 dst_sel:DWORD dst_unused:UNUSED_PAD src0_sel:DWORD src1_sel:BYTE_0
	v_lshlrev_b32_sdwa v4, v85, v4 dst_sel:DWORD dst_unused:UNUSED_PAD src0_sel:DWORD src1_sel:BYTE_1
	;; [unrolled: 11-line block ×3, first 2 shown]
	v_lshlrev_b32_sdwa v8, v85, v8 dst_sel:DWORD dst_unused:UNUSED_PAD src0_sel:DWORD src1_sel:BYTE_1
	global_load_dwordx2 v[104:105], v10, s[0:1]
	global_load_dwordx2 v[106:107], v8, s[0:1] offset:2048
	global_load_dwordx2 v[108:109], v4, s[0:1] offset:2048
	global_load_dwordx2 v[110:111], v6, s[0:1]
	v_mul_lo_u32 v8, v20, v15
	v_mul_lo_u32 v4, v20, v21
	v_lshlrev_b32_sdwa v10, v85, v8 dst_sel:DWORD dst_unused:UNUSED_PAD src0_sel:DWORD src1_sel:BYTE_0
	v_lshlrev_b32_sdwa v6, v85, v4 dst_sel:DWORD dst_unused:UNUSED_PAD src0_sel:DWORD src1_sel:BYTE_0
	v_lshlrev_b32_sdwa v4, v85, v4 dst_sel:DWORD dst_unused:UNUSED_PAD src0_sel:DWORD src1_sel:BYTE_1
	v_lshlrev_b32_sdwa v8, v85, v8 dst_sel:DWORD dst_unused:UNUSED_PAD src0_sel:DWORD src1_sel:BYTE_1
	global_load_dwordx2 v[20:21], v10, s[0:1]
	global_load_dwordx2 v[112:113], v8, s[0:1] offset:2048
	global_load_dwordx2 v[114:115], v4, s[0:1] offset:2048
	global_load_dwordx2 v[116:117], v6, s[0:1]
	v_lshlrev_b32_e32 v4, 3, v15
	global_load_dwordx2 v[118:119], v4, s[2:3] offset:448
	v_mul_f32_e32 v4, v43, v45
	v_mul_f32_e32 v17, v42, v45
	v_fma_f32 v15, v42, v44, -v4
	v_fmac_f32_e32 v17, v43, v44
	v_mov_b32_e32 v13, 0
	v_mov_b32_e32 v29, v31
	;; [unrolled: 1-line block ×3, first 2 shown]
	s_movk_i32 s2, 0x80
	s_waitcnt vmcnt(18)
	v_mov_b32_e32 v4, v53
	s_waitcnt vmcnt(17)
	v_pk_mul_f32 v[44:45], v[54:55], v[52:53] op_sel:[1,0] op_sel_hi:[0,1]
	v_pk_mul_f32 v[42:43], v[54:55], v[4:5] op_sel:[1,0] op_sel_hi:[0,1]
	v_mov_b32_e32 v4, v45
	v_pk_fma_f32 v[44:45], v[54:55], v[52:53], v[4:5] op_sel:[1,0,0] op_sel_hi:[0,1,1]
	v_mul_f32_e32 v4, v1, v3
	v_pk_fma_f32 v[42:43], v[54:55], v[52:53], v[42:43] neg_lo:[0,0,1] neg_hi:[0,0,1]
	ds_read_b64 v[52:53], v64
	v_fma_f32 v19, v0, v2, -v4
	v_mul_f32_e32 v64, v0, v3
	s_waitcnt vmcnt(14)
	v_mov_b32_e32 v0, v61
	v_fmac_f32_e32 v64, v1, v2
	s_waitcnt vmcnt(13)
	v_pk_mul_f32 v[0:1], v[92:93], v[0:1] op_sel:[1,0] op_sel_hi:[0,1]
	v_pk_fma_f32 v[54:55], v[92:93], v[60:61], v[0:1] neg_lo:[0,0,1] neg_hi:[0,0,1]
	v_pk_mul_f32 v[0:1], v[92:93], v[60:61] op_sel:[1,0] op_sel_hi:[0,1]
	v_mov_b32_e32 v0, v1
	v_pk_fma_f32 v[60:61], v[92:93], v[60:61], v[0:1] op_sel:[1,0,0] op_sel_hi:[0,1,1]
	v_mul_f32_e32 v0, v57, v59
	v_fma_f32 v85, v56, v58, -v0
	s_waitcnt vmcnt(10)
	v_mov_b32_e32 v0, v99
	v_mul_f32_e32 v123, v56, v59
	s_waitcnt vmcnt(9)
	v_pk_mul_f32 v[0:1], v[100:101], v[0:1] op_sel:[1,0] op_sel_hi:[0,1]
	v_fmac_f32_e32 v123, v57, v58
	v_pk_fma_f32 v[56:57], v[100:101], v[98:99], v[0:1] neg_lo:[0,0,1] neg_hi:[0,0,1]
	v_pk_mul_f32 v[0:1], v[100:101], v[98:99] op_sel:[1,0] op_sel_hi:[0,1]
	v_mov_b32_e32 v0, v1
	v_pk_fma_f32 v[58:59], v[100:101], v[98:99], v[0:1] op_sel:[1,0,0] op_sel_hi:[0,1,1]
	v_mul_f32_e32 v0, v95, v97
	v_fma_f32 v100, v94, v96, -v0
	s_waitcnt vmcnt(6)
	v_mov_b32_e32 v0, v109
	s_waitcnt vmcnt(5)
	v_pk_mul_f32 v[0:1], v[110:111], v[0:1] op_sel:[1,0] op_sel_hi:[0,1]
	v_pk_fma_f32 v[92:93], v[110:111], v[108:109], v[0:1] neg_lo:[0,0,1] neg_hi:[0,0,1]
	v_pk_mul_f32 v[0:1], v[110:111], v[108:109] op_sel:[1,0] op_sel_hi:[0,1]
	v_mul_f32_e32 v101, v94, v97
	v_mov_b32_e32 v0, v1
	v_fmac_f32_e32 v101, v95, v96
	v_pk_fma_f32 v[94:95], v[110:111], v[108:109], v[0:1] op_sel:[1,0,0] op_sel_hi:[0,1,1]
	v_mul_f32_e32 v0, v105, v107
	v_fma_f32 v108, v104, v106, -v0
	s_waitcnt vmcnt(2)
	v_mov_b32_e32 v0, v115
	s_waitcnt vmcnt(1)
	v_pk_mul_f32 v[0:1], v[116:117], v[0:1] op_sel:[1,0] op_sel_hi:[0,1]
	v_pk_fma_f32 v[96:97], v[116:117], v[114:115], v[0:1] neg_lo:[0,0,1] neg_hi:[0,0,1]
	v_pk_mul_f32 v[0:1], v[116:117], v[114:115] op_sel:[1,0] op_sel_hi:[0,1]
	v_mov_b32_e32 v0, v1
	v_pk_fma_f32 v[98:99], v[116:117], v[114:115], v[0:1] op_sel:[1,0,0] op_sel_hi:[0,1,1]
	ds_read2st64_b64 v[0:3], v63 offset1:16
	v_mul_f32_e32 v4, v21, v113
	v_mul_f32_e32 v6, v20, v113
	v_fma_f32 v4, v20, v112, -v4
	v_fmac_f32_e32 v6, v112, v21
	s_waitcnt vmcnt(0) lgkmcnt(0)
	v_pk_mul_f32 v[20:21], v[118:119], v[2:3] op_sel:[1,1] op_sel_hi:[0,1]
	v_pk_fma_f32 v[62:63], v[118:119], v[2:3], v[20:21] neg_lo:[0,0,1] neg_hi:[0,0,1]
	v_pk_fma_f32 v[2:3], v[118:119], v[2:3], v[20:21] op_sel_hi:[1,0,1]
	v_mul_f32_e32 v104, v104, v107
	v_mov_b32_e32 v63, v3
	v_pk_add_f32 v[2:3], v[0:1], v[62:63] neg_lo:[0,1] neg_hi:[0,1]
	ds_read_b64 v[62:63], v78
	v_fma_f32 v8, v1, 2.0, -v3
	v_fma_f32 v10, v0, 2.0, -v2
	v_pk_mul_f32 v[0:1], v[2:3], v[98:99] op_sel_hi:[1,0]
	v_fmac_f32_e32 v104, v105, v106
	v_pk_fma_f32 v[20:21], v[2:3], v[96:97], v[0:1] op_sel:[0,0,1] op_sel_hi:[1,1,0] neg_lo:[0,0,1] neg_hi:[0,0,1]
	v_pk_fma_f32 v[0:1], v[2:3], v[96:97], v[0:1] op_sel:[0,0,1] op_sel_hi:[1,0,0]
	v_mul_f32_e32 v3, v6, v10
	v_mul_f32_e32 v0, v8, v6
	v_fma_f32 v2, v4, v10, -v0
	v_fmac_f32_e32 v3, v8, v4
	v_lshl_add_u64 v[96:97], v[12:13], 3, s[8:9]
	global_store_dwordx2 v[96:97], v[2:3], off
	ds_read_b64 v[2:3], v77
	ds_read_b64 v[10:11], v75
	s_waitcnt lgkmcnt(2)
	v_pk_add_f32 v[34:35], v[62:63], v[90:91] neg_lo:[0,1] neg_hi:[0,1]
	v_pk_add_f32 v[6:7], v[86:87], v[24:25] neg_lo:[0,1] neg_hi:[0,1]
	v_pk_mul_f32 v[36:37], v[34:35], v[36:37] op_sel_hi:[1,0]
	v_fma_f32 v0, v63, 2.0, -v35
	v_pk_fma_f32 v[90:91], v[34:35], v[40:41], v[36:37] op_sel:[0,0,1] op_sel_hi:[1,1,0] neg_lo:[0,0,1] neg_hi:[0,0,1]
	v_pk_fma_f32 v[36:37], v[34:35], v[40:41], v[36:37] op_sel:[0,0,1] op_sel_hi:[1,0,0]
	v_fma_f32 v12, v62, 2.0, -v34
	s_waitcnt lgkmcnt(1)
	v_pk_add_f32 v[34:35], v[2:3], v[102:103] neg_lo:[0,1] neg_hi:[0,1]
	v_mov_b32_e32 v91, v37
	v_fma_f32 v21, v3, 2.0, -v35
	v_fma_f32 v36, v2, 2.0, -v34
	ds_read_b64 v[2:3], v65
	s_waitcnt lgkmcnt(1)
	v_pk_add_f32 v[8:9], v[10:11], v[22:23] neg_lo:[0,1] neg_hi:[0,1]
	v_pk_mul_f32 v[40:41], v[34:35], v[46:47] op_sel_hi:[1,0]
	v_pk_mul_f32 v[22:23], v[8:9], v[50:51] op_sel_hi:[1,0]
	v_pk_fma_f32 v[46:47], v[34:35], v[38:39], v[40:41] op_sel:[0,0,1] op_sel_hi:[1,1,0] neg_lo:[0,0,1] neg_hi:[0,0,1]
	v_pk_fma_f32 v[38:39], v[34:35], v[38:39], v[40:41] op_sel:[0,0,1] op_sel_hi:[1,0,0]
	v_pk_fma_f32 v[34:35], v[8:9], v[48:49], v[22:23] op_sel:[0,0,1] op_sel_hi:[1,1,0] neg_lo:[0,0,1] neg_hi:[0,0,1]
	v_pk_fma_f32 v[22:23], v[8:9], v[48:49], v[22:23] op_sel:[0,0,1] op_sel_hi:[1,0,0]
	v_fma_f32 v35, v10, 2.0, -v8
	v_fma_f32 v22, v11, 2.0, -v9
	v_pk_mul_f32 v[8:9], v[6:7], v[44:45] op_sel_hi:[1,0]
	s_waitcnt lgkmcnt(0)
	v_pk_add_f32 v[4:5], v[2:3], v[26:27] neg_lo:[0,1] neg_hi:[0,1]
	v_pk_fma_f32 v[10:11], v[6:7], v[42:43], v[8:9] op_sel:[0,0,1] op_sel_hi:[1,1,0] neg_lo:[0,0,1] neg_hi:[0,0,1]
	v_pk_fma_f32 v[8:9], v[6:7], v[42:43], v[8:9] op_sel:[0,0,1] op_sel_hi:[1,0,0]
	v_fma_f32 v11, v86, 2.0, -v6
	v_fma_f32 v8, v87, 2.0, -v7
	v_pk_mul_f32 v[6:7], v[4:5], v[60:61] op_sel_hi:[1,0]
	v_mul_f32_e32 v33, v36, v122
	v_pk_fma_f32 v[24:25], v[4:5], v[54:55], v[6:7] op_sel:[0,0,1] op_sel_hi:[1,1,0] neg_lo:[0,0,1] neg_hi:[0,0,1]
	v_pk_fma_f32 v[6:7], v[4:5], v[54:55], v[6:7] op_sel:[0,0,1] op_sel_hi:[1,0,0]
	v_fma_f32 v25, v2, 2.0, -v4
	v_fma_f32 v6, v3, 2.0, -v5
	v_pk_add_f32 v[2:3], v[52:53], v[28:29] neg_lo:[0,1] neg_hi:[0,1]
	v_fmac_f32_e32 v33, v21, v121
	v_pk_mul_f32 v[4:5], v[2:3], v[58:59] op_sel_hi:[1,0]
	v_mul_f32_e32 v41, v35, v17
	v_pk_fma_f32 v[26:27], v[2:3], v[56:57], v[4:5] op_sel:[0,0,1] op_sel_hi:[1,1,0] neg_lo:[0,0,1] neg_hi:[0,0,1]
	v_pk_fma_f32 v[4:5], v[2:3], v[56:57], v[4:5] op_sel:[0,0,1] op_sel_hi:[1,0,0]
	v_fma_f32 v27, v52, 2.0, -v2
	v_fma_f32 v4, v53, 2.0, -v3
	v_pk_add_f32 v[2:3], v[66:67], v[88:89] neg_lo:[0,1] neg_hi:[0,1]
	v_fmac_f32_e32 v41, v22, v15
	v_pk_mul_f32 v[28:29], v[2:3], v[94:95] op_sel_hi:[1,0]
	v_mul_f32_e32 v43, v11, v64
	v_pk_fma_f32 v[30:31], v[2:3], v[92:93], v[28:29] op_sel:[0,0,1] op_sel_hi:[1,1,0] neg_lo:[0,0,1] neg_hi:[0,0,1]
	v_pk_fma_f32 v[28:29], v[2:3], v[92:93], v[28:29] op_sel:[0,0,1] op_sel_hi:[1,0,0]
	v_fma_f32 v31, v66, 2.0, -v2
	v_fma_f32 v28, v67, 2.0, -v3
	v_mul_f32_e32 v3, v12, v32
	v_mul_f32_e32 v2, v0, v32
	v_fmac_f32_e32 v3, v0, v120
	v_mul_f32_e32 v0, v21, v122
	v_fma_f32 v32, v36, v121, -v0
	v_mul_f32_e32 v0, v22, v17
	v_fma_f32 v40, v35, v15, -v0
	;; [unrolled: 2-line block ×6, first 2 shown]
	v_mov_b32_e32 v21, v1
	v_and_or_b32 v1, v74, s2, v84
	v_add_u32_e32 v0, v14, v16
	v_mad_u64_u32 v[14:15], s[0:1], s4, v1, v[0:1]
	v_fmac_f32_e32 v43, v8, v19
	v_mul_f32_e32 v51, v31, v104
	v_mov_b32_e32 v19, v13
	v_mov_b32_e32 v15, v13
	v_fmac_f32_e32 v51, v28, v108
	v_lshl_add_u64 v[18:19], v[18:19], 3, s[8:9]
	v_lshl_add_u64 v[14:15], v[14:15], 3, s[8:9]
	v_or_b32_e32 v1, 64, v1
	global_store_dwordx2 v[18:19], v[20:21], off
	global_store_dwordx2 v[14:15], v[50:51], off
	v_mad_u64_u32 v[14:15], s[0:1], s4, v1, v[0:1]
	v_mov_b32_e32 v15, v13
	v_lshl_add_u64 v[14:15], v[14:15], 3, s[8:9]
	v_mov_b32_e32 v31, v29
	v_and_or_b32 v1, v73, s2, v83
	global_store_dwordx2 v[14:15], v[30:31], off
	v_mad_u64_u32 v[14:15], s[0:1], s4, v1, v[0:1]
	v_mul_f32_e32 v49, v27, v101
	v_mov_b32_e32 v15, v13
	v_fmac_f32_e32 v49, v4, v100
	v_lshl_add_u64 v[14:15], v[14:15], 3, s[8:9]
	v_or_b32_e32 v1, 64, v1
	global_store_dwordx2 v[14:15], v[48:49], off
	v_mad_u64_u32 v[14:15], s[0:1], s4, v1, v[0:1]
	v_and_or_b32 v1, v72, s2, v81
	v_mov_b32_e32 v27, v5
	v_mad_u64_u32 v[4:5], s[0:1], s4, v1, v[0:1]
	v_mul_f32_e32 v45, v25, v123
	v_mov_b32_e32 v15, v13
	v_mov_b32_e32 v5, v13
	v_fmac_f32_e32 v45, v6, v85
	v_lshl_add_u64 v[14:15], v[14:15], 3, s[8:9]
	v_lshl_add_u64 v[4:5], v[4:5], 3, s[8:9]
	v_or_b32_e32 v1, 64, v1
	global_store_dwordx2 v[14:15], v[26:27], off
	global_store_dwordx2 v[4:5], v[44:45], off
	v_mad_u64_u32 v[4:5], s[0:1], s4, v1, v[0:1]
	v_mov_b32_e32 v5, v13
	v_lshl_add_u64 v[4:5], v[4:5], 3, s[8:9]
	v_mov_b32_e32 v25, v7
	v_and_or_b32 v1, v71, s2, v80
	global_store_dwordx2 v[4:5], v[24:25], off
	v_mad_u64_u32 v[4:5], s[0:1], s4, v1, v[0:1]
	v_mov_b32_e32 v5, v13
	v_lshl_add_u64 v[4:5], v[4:5], 3, s[8:9]
	v_or_b32_e32 v1, 64, v1
	global_store_dwordx2 v[4:5], v[42:43], off
	v_mad_u64_u32 v[4:5], s[0:1], s4, v1, v[0:1]
	v_mov_b32_e32 v5, v13
	v_lshl_add_u64 v[4:5], v[4:5], 3, s[8:9]
	v_mov_b32_e32 v11, v9
	v_and_or_b32 v1, v70, s2, v79
	global_store_dwordx2 v[4:5], v[10:11], off
	v_mad_u64_u32 v[4:5], s[0:1], s4, v1, v[0:1]
	v_mov_b32_e32 v5, v13
	v_lshl_add_u64 v[4:5], v[4:5], 3, s[8:9]
	v_or_b32_e32 v1, 64, v1
	;; [unrolled: 11-line block ×3, first 2 shown]
	global_store_dwordx2 v[4:5], v[32:33], off
	v_mad_u64_u32 v[4:5], s[0:1], s4, v1, v[0:1]
	v_mov_b32_e32 v5, v13
	v_lshl_add_u64 v[4:5], v[4:5], 3, s[8:9]
	v_mov_b32_e32 v47, v39
	v_and_or_b32 v1, v68, s2, v82
	global_store_dwordx2 v[4:5], v[46:47], off
	v_mad_u64_u32 v[4:5], s[0:1], s4, v1, v[0:1]
	v_or_b32_e32 v1, 64, v1
	v_mad_u64_u32 v[0:1], s[0:1], s4, v1, v[0:1]
	v_mov_b32_e32 v5, v13
	v_mov_b32_e32 v1, v13
	v_fma_f32 v2, v12, v120, -v2
	v_lshl_add_u64 v[4:5], v[4:5], 3, s[8:9]
	v_lshl_add_u64 v[0:1], v[0:1], 3, s[8:9]
	global_store_dwordx2 v[4:5], v[2:3], off
	global_store_dwordx2 v[0:1], v[90:91], off
.LBB0_40:
	s_endpgm
	.section	.rodata,"a",@progbits
	.p2align	6, 0x0
	.amdhsa_kernel fft_rtc_fwd_len128_factors_8_4_2_2_wgs_128_tpt_8_dim3_sp_ip_CI_sbcc_twdbase8_2step_dirReg_intrinsicReadWrite
		.amdhsa_group_segment_fixed_size 0
		.amdhsa_private_segment_fixed_size 0
		.amdhsa_kernarg_size 88
		.amdhsa_user_sgpr_count 2
		.amdhsa_user_sgpr_dispatch_ptr 0
		.amdhsa_user_sgpr_queue_ptr 0
		.amdhsa_user_sgpr_kernarg_segment_ptr 1
		.amdhsa_user_sgpr_dispatch_id 0
		.amdhsa_user_sgpr_kernarg_preload_length 0
		.amdhsa_user_sgpr_kernarg_preload_offset 0
		.amdhsa_user_sgpr_private_segment_size 0
		.amdhsa_uses_dynamic_stack 0
		.amdhsa_enable_private_segment 0
		.amdhsa_system_sgpr_workgroup_id_x 1
		.amdhsa_system_sgpr_workgroup_id_y 0
		.amdhsa_system_sgpr_workgroup_id_z 0
		.amdhsa_system_sgpr_workgroup_info 0
		.amdhsa_system_vgpr_workitem_id 0
		.amdhsa_next_free_vgpr 124
		.amdhsa_next_free_sgpr 26
		.amdhsa_accum_offset 124
		.amdhsa_reserve_vcc 1
		.amdhsa_float_round_mode_32 0
		.amdhsa_float_round_mode_16_64 0
		.amdhsa_float_denorm_mode_32 3
		.amdhsa_float_denorm_mode_16_64 3
		.amdhsa_dx10_clamp 1
		.amdhsa_ieee_mode 1
		.amdhsa_fp16_overflow 0
		.amdhsa_tg_split 0
		.amdhsa_exception_fp_ieee_invalid_op 0
		.amdhsa_exception_fp_denorm_src 0
		.amdhsa_exception_fp_ieee_div_zero 0
		.amdhsa_exception_fp_ieee_overflow 0
		.amdhsa_exception_fp_ieee_underflow 0
		.amdhsa_exception_fp_ieee_inexact 0
		.amdhsa_exception_int_div_zero 0
	.end_amdhsa_kernel
	.text
.Lfunc_end0:
	.size	fft_rtc_fwd_len128_factors_8_4_2_2_wgs_128_tpt_8_dim3_sp_ip_CI_sbcc_twdbase8_2step_dirReg_intrinsicReadWrite, .Lfunc_end0-fft_rtc_fwd_len128_factors_8_4_2_2_wgs_128_tpt_8_dim3_sp_ip_CI_sbcc_twdbase8_2step_dirReg_intrinsicReadWrite
                                        ; -- End function
	.section	.AMDGPU.csdata,"",@progbits
; Kernel info:
; codeLenInByte = 7144
; NumSgprs: 32
; NumVgprs: 124
; NumAgprs: 0
; TotalNumVgprs: 124
; ScratchSize: 0
; MemoryBound: 0
; FloatMode: 240
; IeeeMode: 1
; LDSByteSize: 0 bytes/workgroup (compile time only)
; SGPRBlocks: 3
; VGPRBlocks: 15
; NumSGPRsForWavesPerEU: 32
; NumVGPRsForWavesPerEU: 124
; AccumOffset: 124
; Occupancy: 4
; WaveLimiterHint : 1
; COMPUTE_PGM_RSRC2:SCRATCH_EN: 0
; COMPUTE_PGM_RSRC2:USER_SGPR: 2
; COMPUTE_PGM_RSRC2:TRAP_HANDLER: 0
; COMPUTE_PGM_RSRC2:TGID_X_EN: 1
; COMPUTE_PGM_RSRC2:TGID_Y_EN: 0
; COMPUTE_PGM_RSRC2:TGID_Z_EN: 0
; COMPUTE_PGM_RSRC2:TIDIG_COMP_CNT: 0
; COMPUTE_PGM_RSRC3_GFX90A:ACCUM_OFFSET: 30
; COMPUTE_PGM_RSRC3_GFX90A:TG_SPLIT: 0
	.text
	.p2alignl 6, 3212836864
	.fill 256, 4, 3212836864
	.type	__hip_cuid_27af1b7a390717f4,@object ; @__hip_cuid_27af1b7a390717f4
	.section	.bss,"aw",@nobits
	.globl	__hip_cuid_27af1b7a390717f4
__hip_cuid_27af1b7a390717f4:
	.byte	0                               ; 0x0
	.size	__hip_cuid_27af1b7a390717f4, 1

	.ident	"AMD clang version 19.0.0git (https://github.com/RadeonOpenCompute/llvm-project roc-6.4.0 25133 c7fe45cf4b819c5991fe208aaa96edf142730f1d)"
	.section	".note.GNU-stack","",@progbits
	.addrsig
	.addrsig_sym __hip_cuid_27af1b7a390717f4
	.amdgpu_metadata
---
amdhsa.kernels:
  - .agpr_count:     0
    .args:
      - .actual_access:  read_only
        .address_space:  global
        .offset:         0
        .size:           8
        .value_kind:     global_buffer
      - .address_space:  global
        .offset:         8
        .size:           8
        .value_kind:     global_buffer
      - .actual_access:  read_only
        .address_space:  global
        .offset:         16
        .size:           8
        .value_kind:     global_buffer
      - .actual_access:  read_only
        .address_space:  global
        .offset:         24
        .size:           8
        .value_kind:     global_buffer
      - .offset:         32
        .size:           8
        .value_kind:     by_value
      - .actual_access:  read_only
        .address_space:  global
        .offset:         40
        .size:           8
        .value_kind:     global_buffer
      - .actual_access:  read_only
        .address_space:  global
        .offset:         48
        .size:           8
        .value_kind:     global_buffer
      - .offset:         56
        .size:           4
        .value_kind:     by_value
      - .actual_access:  read_only
        .address_space:  global
        .offset:         64
        .size:           8
        .value_kind:     global_buffer
      - .actual_access:  read_only
        .address_space:  global
        .offset:         72
        .size:           8
        .value_kind:     global_buffer
      - .address_space:  global
        .offset:         80
        .size:           8
        .value_kind:     global_buffer
    .group_segment_fixed_size: 0
    .kernarg_segment_align: 8
    .kernarg_segment_size: 88
    .language:       OpenCL C
    .language_version:
      - 2
      - 0
    .max_flat_workgroup_size: 128
    .name:           fft_rtc_fwd_len128_factors_8_4_2_2_wgs_128_tpt_8_dim3_sp_ip_CI_sbcc_twdbase8_2step_dirReg_intrinsicReadWrite
    .private_segment_fixed_size: 0
    .sgpr_count:     32
    .sgpr_spill_count: 0
    .symbol:         fft_rtc_fwd_len128_factors_8_4_2_2_wgs_128_tpt_8_dim3_sp_ip_CI_sbcc_twdbase8_2step_dirReg_intrinsicReadWrite.kd
    .uniform_work_group_size: 1
    .uses_dynamic_stack: false
    .vgpr_count:     124
    .vgpr_spill_count: 0
    .wavefront_size: 64
amdhsa.target:   amdgcn-amd-amdhsa--gfx950
amdhsa.version:
  - 1
  - 2
...

	.end_amdgpu_metadata
